;; amdgpu-corpus repo=ROCm/rocFFT kind=compiled arch=gfx906 opt=O3
	.text
	.amdgcn_target "amdgcn-amd-amdhsa--gfx906"
	.amdhsa_code_object_version 6
	.protected	fft_rtc_fwd_len640_factors_8_10_8_wgs_128_tpt_64_halfLds_sp_ip_CI_unitstride_sbrr_R2C_dirReg ; -- Begin function fft_rtc_fwd_len640_factors_8_10_8_wgs_128_tpt_64_halfLds_sp_ip_CI_unitstride_sbrr_R2C_dirReg
	.globl	fft_rtc_fwd_len640_factors_8_10_8_wgs_128_tpt_64_halfLds_sp_ip_CI_unitstride_sbrr_R2C_dirReg
	.p2align	8
	.type	fft_rtc_fwd_len640_factors_8_10_8_wgs_128_tpt_64_halfLds_sp_ip_CI_unitstride_sbrr_R2C_dirReg,@function
fft_rtc_fwd_len640_factors_8_10_8_wgs_128_tpt_64_halfLds_sp_ip_CI_unitstride_sbrr_R2C_dirReg: ; @fft_rtc_fwd_len640_factors_8_10_8_wgs_128_tpt_64_halfLds_sp_ip_CI_unitstride_sbrr_R2C_dirReg
; %bb.0:
	s_load_dwordx2 s[12:13], s[4:5], 0x50
	s_load_dwordx4 s[8:11], s[4:5], 0x0
	s_load_dwordx2 s[2:3], s[4:5], 0x18
	v_lshrrev_b32_e32 v1, 6, v0
	v_lshl_or_b32 v5, s6, 1, v1
	v_mov_b32_e32 v3, 0
	s_waitcnt lgkmcnt(0)
	v_cmp_lt_u64_e64 s[0:1], s[10:11], 2
	v_mov_b32_e32 v1, 0
	v_mov_b32_e32 v6, v3
	s_and_b64 vcc, exec, s[0:1]
	v_mov_b32_e32 v2, 0
	s_cbranch_vccnz .LBB0_8
; %bb.1:
	s_load_dwordx2 s[0:1], s[4:5], 0x10
	s_add_u32 s6, s2, 8
	s_addc_u32 s7, s3, 0
	v_mov_b32_e32 v1, 0
	v_mov_b32_e32 v2, 0
	s_waitcnt lgkmcnt(0)
	s_add_u32 s14, s0, 8
	s_addc_u32 s15, s1, 0
	s_mov_b64 s[16:17], 1
.LBB0_2:                                ; =>This Inner Loop Header: Depth=1
	s_load_dwordx2 s[18:19], s[14:15], 0x0
                                        ; implicit-def: $vgpr7_vgpr8
	s_waitcnt lgkmcnt(0)
	v_or_b32_e32 v4, s19, v6
	v_cmp_ne_u64_e32 vcc, 0, v[3:4]
	s_and_saveexec_b64 s[0:1], vcc
	s_xor_b64 s[20:21], exec, s[0:1]
	s_cbranch_execz .LBB0_4
; %bb.3:                                ;   in Loop: Header=BB0_2 Depth=1
	v_cvt_f32_u32_e32 v4, s18
	v_cvt_f32_u32_e32 v7, s19
	s_sub_u32 s0, 0, s18
	s_subb_u32 s1, 0, s19
	v_mac_f32_e32 v4, 0x4f800000, v7
	v_rcp_f32_e32 v4, v4
	v_mul_f32_e32 v4, 0x5f7ffffc, v4
	v_mul_f32_e32 v7, 0x2f800000, v4
	v_trunc_f32_e32 v7, v7
	v_mac_f32_e32 v4, 0xcf800000, v7
	v_cvt_u32_f32_e32 v7, v7
	v_cvt_u32_f32_e32 v4, v4
	v_mul_lo_u32 v8, s0, v7
	v_mul_hi_u32 v9, s0, v4
	v_mul_lo_u32 v11, s1, v4
	v_mul_lo_u32 v10, s0, v4
	v_add_u32_e32 v8, v9, v8
	v_add_u32_e32 v8, v8, v11
	v_mul_hi_u32 v9, v4, v10
	v_mul_lo_u32 v11, v4, v8
	v_mul_hi_u32 v13, v4, v8
	v_mul_hi_u32 v12, v7, v10
	v_mul_lo_u32 v10, v7, v10
	v_mul_hi_u32 v14, v7, v8
	v_add_co_u32_e32 v9, vcc, v9, v11
	v_addc_co_u32_e32 v11, vcc, 0, v13, vcc
	v_mul_lo_u32 v8, v7, v8
	v_add_co_u32_e32 v9, vcc, v9, v10
	v_addc_co_u32_e32 v9, vcc, v11, v12, vcc
	v_addc_co_u32_e32 v10, vcc, 0, v14, vcc
	v_add_co_u32_e32 v8, vcc, v9, v8
	v_addc_co_u32_e32 v9, vcc, 0, v10, vcc
	v_add_co_u32_e32 v4, vcc, v4, v8
	v_addc_co_u32_e32 v7, vcc, v7, v9, vcc
	v_mul_lo_u32 v8, s0, v7
	v_mul_hi_u32 v9, s0, v4
	v_mul_lo_u32 v10, s1, v4
	v_mul_lo_u32 v11, s0, v4
	v_add_u32_e32 v8, v9, v8
	v_add_u32_e32 v8, v8, v10
	v_mul_lo_u32 v12, v4, v8
	v_mul_hi_u32 v13, v4, v11
	v_mul_hi_u32 v14, v4, v8
	;; [unrolled: 1-line block ×3, first 2 shown]
	v_mul_lo_u32 v11, v7, v11
	v_mul_hi_u32 v9, v7, v8
	v_add_co_u32_e32 v12, vcc, v13, v12
	v_addc_co_u32_e32 v13, vcc, 0, v14, vcc
	v_mul_lo_u32 v8, v7, v8
	v_add_co_u32_e32 v11, vcc, v12, v11
	v_addc_co_u32_e32 v10, vcc, v13, v10, vcc
	v_addc_co_u32_e32 v9, vcc, 0, v9, vcc
	v_add_co_u32_e32 v8, vcc, v10, v8
	v_addc_co_u32_e32 v9, vcc, 0, v9, vcc
	v_add_co_u32_e32 v4, vcc, v4, v8
	v_addc_co_u32_e32 v9, vcc, v7, v9, vcc
	v_mad_u64_u32 v[7:8], s[0:1], v5, v9, 0
	v_mul_hi_u32 v10, v5, v4
	v_add_co_u32_e32 v11, vcc, v10, v7
	v_addc_co_u32_e32 v12, vcc, 0, v8, vcc
	v_mad_u64_u32 v[7:8], s[0:1], v6, v4, 0
	v_mad_u64_u32 v[9:10], s[0:1], v6, v9, 0
	v_add_co_u32_e32 v4, vcc, v11, v7
	v_addc_co_u32_e32 v4, vcc, v12, v8, vcc
	v_addc_co_u32_e32 v7, vcc, 0, v10, vcc
	v_add_co_u32_e32 v4, vcc, v4, v9
	v_addc_co_u32_e32 v9, vcc, 0, v7, vcc
	v_mul_lo_u32 v10, s19, v4
	v_mul_lo_u32 v11, s18, v9
	v_mad_u64_u32 v[7:8], s[0:1], s18, v4, 0
	v_add3_u32 v8, v8, v11, v10
	v_sub_u32_e32 v10, v6, v8
	v_mov_b32_e32 v11, s19
	v_sub_co_u32_e32 v7, vcc, v5, v7
	v_subb_co_u32_e64 v10, s[0:1], v10, v11, vcc
	v_subrev_co_u32_e64 v11, s[0:1], s18, v7
	v_subbrev_co_u32_e64 v10, s[0:1], 0, v10, s[0:1]
	v_cmp_le_u32_e64 s[0:1], s19, v10
	v_cndmask_b32_e64 v12, 0, -1, s[0:1]
	v_cmp_le_u32_e64 s[0:1], s18, v11
	v_cndmask_b32_e64 v11, 0, -1, s[0:1]
	v_cmp_eq_u32_e64 s[0:1], s19, v10
	v_cndmask_b32_e64 v10, v12, v11, s[0:1]
	v_add_co_u32_e64 v11, s[0:1], 2, v4
	v_addc_co_u32_e64 v12, s[0:1], 0, v9, s[0:1]
	v_add_co_u32_e64 v13, s[0:1], 1, v4
	v_addc_co_u32_e64 v14, s[0:1], 0, v9, s[0:1]
	v_subb_co_u32_e32 v8, vcc, v6, v8, vcc
	v_cmp_ne_u32_e64 s[0:1], 0, v10
	v_cmp_le_u32_e32 vcc, s19, v8
	v_cndmask_b32_e64 v10, v14, v12, s[0:1]
	v_cndmask_b32_e64 v12, 0, -1, vcc
	v_cmp_le_u32_e32 vcc, s18, v7
	v_cndmask_b32_e64 v7, 0, -1, vcc
	v_cmp_eq_u32_e32 vcc, s19, v8
	v_cndmask_b32_e32 v7, v12, v7, vcc
	v_cmp_ne_u32_e32 vcc, 0, v7
	v_cndmask_b32_e64 v7, v13, v11, s[0:1]
	v_cndmask_b32_e32 v8, v9, v10, vcc
	v_cndmask_b32_e32 v7, v4, v7, vcc
.LBB0_4:                                ;   in Loop: Header=BB0_2 Depth=1
	s_andn2_saveexec_b64 s[0:1], s[20:21]
	s_cbranch_execz .LBB0_6
; %bb.5:                                ;   in Loop: Header=BB0_2 Depth=1
	v_cvt_f32_u32_e32 v4, s18
	s_sub_i32 s20, 0, s18
	v_rcp_iflag_f32_e32 v4, v4
	v_mul_f32_e32 v4, 0x4f7ffffe, v4
	v_cvt_u32_f32_e32 v4, v4
	v_mul_lo_u32 v7, s20, v4
	v_mul_hi_u32 v7, v4, v7
	v_add_u32_e32 v4, v4, v7
	v_mul_hi_u32 v4, v5, v4
	v_mul_lo_u32 v7, v4, s18
	v_add_u32_e32 v8, 1, v4
	v_sub_u32_e32 v7, v5, v7
	v_subrev_u32_e32 v9, s18, v7
	v_cmp_le_u32_e32 vcc, s18, v7
	v_cndmask_b32_e32 v7, v7, v9, vcc
	v_cndmask_b32_e32 v4, v4, v8, vcc
	v_add_u32_e32 v8, 1, v4
	v_cmp_le_u32_e32 vcc, s18, v7
	v_cndmask_b32_e32 v7, v4, v8, vcc
	v_mov_b32_e32 v8, v3
.LBB0_6:                                ;   in Loop: Header=BB0_2 Depth=1
	s_or_b64 exec, exec, s[0:1]
	v_mul_lo_u32 v4, v8, s18
	v_mul_lo_u32 v11, v7, s19
	v_mad_u64_u32 v[9:10], s[0:1], v7, s18, 0
	s_load_dwordx2 s[0:1], s[6:7], 0x0
	s_add_u32 s16, s16, 1
	v_add3_u32 v4, v10, v11, v4
	v_sub_co_u32_e32 v5, vcc, v5, v9
	v_subb_co_u32_e32 v4, vcc, v6, v4, vcc
	s_waitcnt lgkmcnt(0)
	v_mul_lo_u32 v4, s0, v4
	v_mul_lo_u32 v6, s1, v5
	v_mad_u64_u32 v[1:2], s[0:1], s0, v5, v[1:2]
	s_addc_u32 s17, s17, 0
	s_add_u32 s6, s6, 8
	v_add3_u32 v2, v6, v2, v4
	v_mov_b32_e32 v4, s10
	v_mov_b32_e32 v5, s11
	s_addc_u32 s7, s7, 0
	v_cmp_ge_u64_e32 vcc, s[16:17], v[4:5]
	s_add_u32 s14, s14, 8
	s_addc_u32 s15, s15, 0
	s_cbranch_vccnz .LBB0_9
; %bb.7:                                ;   in Loop: Header=BB0_2 Depth=1
	v_mov_b32_e32 v5, v7
	v_mov_b32_e32 v6, v8
	s_branch .LBB0_2
.LBB0_8:
	v_mov_b32_e32 v8, v6
	v_mov_b32_e32 v7, v5
.LBB0_9:
	s_lshl_b64 s[0:1], s[10:11], 3
	s_add_u32 s0, s2, s0
	s_addc_u32 s1, s3, s1
	s_load_dwordx2 s[2:3], s[0:1], 0x0
	s_load_dwordx2 s[6:7], s[4:5], 0x20
	v_and_b32_e32 v6, 64, v0
	v_and_b32_e32 v16, 63, v0
	v_mov_b32_e32 v3, 0x281
	s_waitcnt lgkmcnt(0)
	v_mul_lo_u32 v4, s2, v8
	v_mul_lo_u32 v5, s3, v7
	v_mad_u64_u32 v[1:2], s[0:1], s2, v7, v[1:2]
	v_cmp_gt_u64_e32 vcc, s[6:7], v[7:8]
	v_cmp_le_u64_e64 s[2:3], s[6:7], v[7:8]
	v_cmp_ne_u32_e64 s[0:1], 0, v6
	v_add3_u32 v2, v5, v2, v4
	v_or_b32_e32 v20, 64, v16
	s_and_saveexec_b64 s[4:5], s[2:3]
	s_xor_b64 s[2:3], exec, s[4:5]
; %bb.10:
	v_or_b32_e32 v20, 64, v16
; %bb.11:
	s_or_saveexec_b64 s[2:3], s[2:3]
	v_cndmask_b32_e64 v3, 0, v3, s[0:1]
	v_lshlrev_b64 v[18:19], 3, v[1:2]
	v_lshlrev_b32_e32 v37, 3, v16
	v_lshlrev_b32_e32 v4, 3, v3
	s_xor_b64 exec, exec, s[2:3]
	s_cbranch_execz .LBB0_13
; %bb.12:
	v_mov_b32_e32 v1, s13
	v_add_co_u32_e64 v3, s[0:1], s12, v18
	v_addc_co_u32_e64 v15, s[0:1], v1, v19, s[0:1]
	v_add_co_u32_e64 v1, s[0:1], v3, v37
	v_addc_co_u32_e64 v2, s[0:1], 0, v15, s[0:1]
	global_load_dwordx2 v[5:6], v[1:2], off
	global_load_dwordx2 v[7:8], v[1:2], off offset:512
	global_load_dwordx2 v[9:10], v[1:2], off offset:1024
	;; [unrolled: 1-line block ×7, first 2 shown]
	v_or_b32_e32 v1, 0x1000, v37
	v_add_co_u32_e64 v1, s[0:1], v3, v1
	v_addc_co_u32_e64 v2, s[0:1], 0, v15, s[0:1]
	v_or_b32_e32 v17, 0x1200, v37
	v_add_co_u32_e64 v27, s[0:1], v3, v17
	v_addc_co_u32_e64 v28, s[0:1], 0, v15, s[0:1]
	global_load_dwordx2 v[29:30], v[1:2], off
	global_load_dwordx2 v[31:32], v[27:28], off
	v_add3_u32 v1, 0, v4, v37
	s_waitcnt vmcnt(8)
	ds_write2st64_b64 v1, v[5:6], v[7:8] offset1:1
	s_waitcnt vmcnt(6)
	ds_write2st64_b64 v1, v[9:10], v[11:12] offset0:2 offset1:3
	s_waitcnt vmcnt(4)
	ds_write2st64_b64 v1, v[13:14], v[21:22] offset0:4 offset1:5
	;; [unrolled: 2-line block ×4, first 2 shown]
.LBB0_13:
	s_or_b64 exec, exec, s[2:3]
	v_add3_u32 v17, 0, v37, v4
	v_add_u32_e32 v39, 0, v4
	v_add_u32_e32 v5, 0x800, v17
	s_waitcnt lgkmcnt(0)
	s_barrier
	v_add_u32_e32 v38, v39, v37
	ds_read2_b64 v[6:9], v5 offset0:48 offset1:64
	ds_read_b64 v[1:2], v38
	ds_read2_b64 v[10:13], v17 offset0:144 offset1:160
	ds_read2_b64 v[21:24], v5 offset0:208 offset1:224
	ds_read_b64 v[35:36], v17 offset:4992
	v_cmp_gt_u32_e64 s[0:1], 16, v16
	s_waitcnt lgkmcnt(3)
	v_sub_f32_e32 v3, v1, v8
	v_sub_f32_e32 v40, v2, v9
	s_waitcnt lgkmcnt(1)
	v_sub_f32_e32 v41, v12, v23
	v_fma_f32 v1, v1, 2.0, -v3
	v_fma_f32 v8, v12, 2.0, -v41
	v_sub_f32_e32 v43, v13, v24
	v_fma_f32 v2, v2, 2.0, -v40
	v_sub_f32_e32 v42, v1, v8
	v_fma_f32 v8, v13, 2.0, -v43
	v_sub_f32_e32 v44, v2, v8
	v_add_u32_e32 v8, 0x1000, v17
	ds_read2_b64 v[12:15], v17 offset0:64 offset1:80
	ds_read2_b64 v[23:26], v5 offset0:128 offset1:144
	;; [unrolled: 1-line block ×4, first 2 shown]
	v_fma_f32 v8, v1, 2.0, -v42
	v_fma_f32 v9, v2, 2.0, -v44
	s_waitcnt lgkmcnt(2)
	v_sub_f32_e32 v25, v14, v25
	v_fma_f32 v1, v14, 2.0, -v25
	s_waitcnt lgkmcnt(0)
	v_sub_f32_e32 v14, v33, v29
	v_fma_f32 v2, v33, 2.0, -v14
	v_sub_f32_e32 v26, v15, v26
	v_sub_f32_e32 v29, v1, v2
	v_fma_f32 v2, v15, 2.0, -v26
	v_sub_f32_e32 v15, v34, v30
	v_fma_f32 v30, v34, 2.0, -v15
	v_sub_f32_e32 v33, v3, v43
	v_add_f32_e32 v34, v40, v41
	v_fma_f32 v3, v3, 2.0, -v33
	v_fma_f32 v40, v40, 2.0, -v34
	v_sub_f32_e32 v41, v25, v15
	v_add_f32_e32 v43, v26, v14
	v_sub_f32_e32 v30, v2, v30
	v_fma_f32 v25, v25, 2.0, -v41
	v_fma_f32 v26, v26, 2.0, -v43
	v_mov_b32_e32 v14, v3
	v_mov_b32_e32 v15, v40
	v_fma_f32 v1, v1, 2.0, -v29
	v_fma_f32 v2, v2, 2.0, -v30
	v_fmac_f32_e32 v14, 0xbf3504f3, v25
	v_fmac_f32_e32 v15, 0xbf3504f3, v26
	v_sub_f32_e32 v1, v8, v1
	v_sub_f32_e32 v2, v9, v2
	v_fmac_f32_e32 v14, 0xbf3504f3, v26
	v_fmac_f32_e32 v15, 0x3f3504f3, v25
	v_fma_f32 v8, v8, 2.0, -v1
	v_fma_f32 v9, v9, 2.0, -v2
	;; [unrolled: 1-line block ×4, first 2 shown]
	v_mad_u32_u24 v3, v16, 56, v17
	s_barrier
	ds_write2_b64 v3, v[8:9], v[25:26] offset1:1
	v_sub_f32_e32 v8, v42, v30
	v_add_f32_e32 v9, v44, v29
	v_mov_b32_e32 v29, v33
	v_mov_b32_e32 v30, v34
	v_fmac_f32_e32 v29, 0x3f3504f3, v41
	v_fmac_f32_e32 v30, 0x3f3504f3, v43
	;; [unrolled: 1-line block ×4, first 2 shown]
	v_fma_f32 v25, v42, 2.0, -v8
	v_fma_f32 v26, v44, 2.0, -v9
	;; [unrolled: 1-line block ×4, first 2 shown]
	ds_write2_b64 v3, v[25:26], v[33:34] offset0:2 offset1:3
	ds_write2_b64 v3, v[1:2], v[14:15] offset0:4 offset1:5
	;; [unrolled: 1-line block ×3, first 2 shown]
	v_sub_f32_e32 v2, v12, v23
	v_sub_f32_e32 v3, v13, v24
	v_fma_f32 v1, v12, 2.0, -v2
	v_sub_f32_e32 v12, v32, v28
	v_sub_f32_e32 v15, v10, v21
	;; [unrolled: 1-line block ×5, first 2 shown]
	v_fma_f32 v8, v13, 2.0, -v3
	v_sub_f32_e32 v9, v31, v27
	v_fma_f32 v14, v32, 2.0, -v12
	v_fma_f32 v10, v10, 2.0, -v15
	;; [unrolled: 1-line block ×6, first 2 shown]
	v_sub_f32_e32 v14, v8, v14
	v_sub_f32_e32 v12, v2, v12
	v_add_f32_e32 v9, v3, v9
	v_sub_f32_e32 v24, v10, v24
	v_sub_f32_e32 v27, v11, v25
	v_fma_f32 v6, v8, 2.0, -v14
	v_fma_f32 v7, v2, 2.0, -v12
	;; [unrolled: 1-line block ×5, first 2 shown]
	v_sub_f32_e32 v10, v15, v23
	v_add_f32_e32 v11, v21, v22
	v_add_f32_e32 v28, v14, v24
	v_mov_b32_e32 v23, v12
	v_mov_b32_e32 v24, v9
	v_sub_f32_e32 v13, v1, v13
	v_fma_f32 v15, v15, 2.0, -v10
	v_fma_f32 v21, v21, 2.0, -v11
	v_mov_b32_e32 v25, v7
	v_mov_b32_e32 v26, v8
	v_fmac_f32_e32 v23, 0x3f3504f3, v10
	v_fmac_f32_e32 v24, 0x3f3504f3, v11
	v_fma_f32 v1, v1, 2.0, -v13
	v_fmac_f32_e32 v25, 0xbf3504f3, v15
	v_fmac_f32_e32 v26, 0xbf3504f3, v21
	v_sub_f32_e32 v27, v13, v27
	v_fmac_f32_e32 v23, 0xbf3504f3, v11
	v_fmac_f32_e32 v24, 0x3f3504f3, v10
	v_sub_f32_e32 v2, v1, v2
	v_sub_f32_e32 v3, v6, v3
	v_fmac_f32_e32 v25, 0xbf3504f3, v21
	v_fmac_f32_e32 v26, 0x3f3504f3, v15
	v_fma_f32 v21, v13, 2.0, -v27
	v_fma_f32 v22, v14, 2.0, -v28
	;; [unrolled: 1-line block ×4, first 2 shown]
	s_and_saveexec_b64 s[2:3], s[0:1]
	s_cbranch_execz .LBB0_15
; %bb.14:
	v_fma_f32 v9, v1, 2.0, -v2
	v_lshlrev_b32_e32 v1, 6, v20
	v_fma_f32 v8, v8, 2.0, -v26
	v_fma_f32 v7, v7, 2.0, -v25
	;; [unrolled: 1-line block ×3, first 2 shown]
	v_add3_u32 v1, 0, v1, v4
	ds_write2_b64 v1, v[9:10], v[7:8] offset1:1
	ds_write2_b64 v1, v[21:22], v[29:30] offset0:2 offset1:3
	ds_write2_b64 v1, v[2:3], v[25:26] offset0:4 offset1:5
	;; [unrolled: 1-line block ×3, first 2 shown]
.LBB0_15:
	s_or_b64 exec, exec, s[2:3]
	v_and_b32_e32 v49, 7, v0
	v_mul_u32_u24_e32 v0, 9, v49
	v_lshlrev_b32_e32 v14, 3, v0
	s_waitcnt lgkmcnt(0)
	s_barrier
	global_load_dwordx4 v[6:9], v14, s[8:9]
	global_load_dwordx4 v[10:13], v14, s[8:9] offset:16
	global_load_dwordx4 v[31:34], v14, s[8:9] offset:32
	;; [unrolled: 1-line block ×3, first 2 shown]
	global_load_dwordx2 v[0:1], v14, s[8:9] offset:64
	v_lshlrev_b32_e32 v14, 3, v20
	v_add3_u32 v40, 0, v14, v4
	ds_read_b64 v[14:15], v40
	ds_read2st64_b64 v[45:48], v17 offset0:2 offset1:3
	s_mov_b32 s2, 0x3f737871
	s_mov_b32 s3, 0x3f167918
	;; [unrolled: 1-line block ×4, first 2 shown]
	s_waitcnt vmcnt(4) lgkmcnt(1)
	v_mul_f32_e32 v35, v7, v15
	v_mul_f32_e32 v36, v7, v14
	s_waitcnt lgkmcnt(0)
	v_mul_f32_e32 v7, v9, v46
	v_fma_f32 v14, v6, v14, -v35
	v_fmac_f32_e32 v36, v6, v15
	v_mul_f32_e32 v15, v9, v45
	s_waitcnt vmcnt(3)
	v_mul_f32_e32 v6, v11, v48
	v_fma_f32 v35, v8, v45, -v7
	v_fmac_f32_e32 v15, v8, v46
	v_fma_f32 v45, v10, v47, -v6
	ds_read2st64_b64 v[6:9], v17 offset0:4 offset1:5
	v_mul_f32_e32 v11, v11, v47
	v_fmac_f32_e32 v11, v10, v48
	s_waitcnt lgkmcnt(0)
	v_mul_f32_e32 v10, v13, v7
	v_mul_f32_e32 v13, v13, v6
	s_waitcnt vmcnt(2)
	v_mul_f32_e32 v46, v32, v9
	v_fma_f32 v10, v12, v6, -v10
	v_fmac_f32_e32 v13, v12, v7
	v_mul_f32_e32 v12, v32, v8
	v_fma_f32 v32, v31, v8, -v46
	v_fmac_f32_e32 v12, v31, v9
	ds_read2st64_b64 v[6:9], v17 offset0:6 offset1:7
	v_sub_f32_e32 v50, v10, v35
	s_waitcnt lgkmcnt(0)
	v_mul_f32_e32 v31, v7, v34
	v_mul_f32_e32 v34, v6, v34
	s_waitcnt vmcnt(1)
	v_mul_f32_e32 v46, v9, v42
	v_fma_f32 v31, v6, v33, -v31
	v_fmac_f32_e32 v34, v7, v33
	v_mul_f32_e32 v33, v8, v42
	v_fma_f32 v42, v8, v41, -v46
	v_fmac_f32_e32 v33, v9, v41
	ds_read2st64_b64 v[6:9], v17 offset0:8 offset1:9
	v_sub_f32_e32 v46, v35, v10
	s_waitcnt lgkmcnt(0)
	v_mul_f32_e32 v41, v7, v44
	v_mul_f32_e32 v44, v6, v44
	v_fma_f32 v41, v6, v43, -v41
	v_fmac_f32_e32 v44, v7, v43
	ds_read_b64 v[6:7], v38
	s_waitcnt vmcnt(0)
	v_mul_f32_e32 v43, v9, v1
	v_mul_f32_e32 v1, v8, v1
	v_add_f32_e32 v48, v35, v41
	v_fma_f32 v8, v8, v0, -v43
	v_fmac_f32_e32 v1, v9, v0
	v_add_f32_e32 v0, v10, v31
	v_sub_f32_e32 v47, v41, v31
	s_waitcnt lgkmcnt(0)
	v_fma_f32 v48, -0.5, v48, v6
	v_sub_f32_e32 v43, v13, v34
	v_add_f32_e32 v46, v46, v47
	v_sub_f32_e32 v47, v31, v41
	v_fma_f32 v0, -0.5, v0, v6
	v_mov_b32_e32 v51, v48
	v_sub_f32_e32 v9, v15, v44
	v_add_f32_e32 v47, v50, v47
	v_mov_b32_e32 v50, v0
	v_fmac_f32_e32 v48, 0x3f737871, v43
	v_fmac_f32_e32 v51, 0xbf737871, v43
	;; [unrolled: 1-line block ×6, first 2 shown]
	v_add_f32_e32 v6, v6, v35
	v_add_f32_e32 v9, v7, v15
	v_fmac_f32_e32 v0, 0xbf167918, v43
	v_fmac_f32_e32 v50, 0x3f167918, v43
	v_add_f32_e32 v43, v13, v34
	v_add_f32_e32 v6, v6, v10
	v_add_f32_e32 v9, v9, v13
	v_fmac_f32_e32 v0, 0x3e9e377a, v46
	v_fmac_f32_e32 v50, 0x3e9e377a, v46
	v_fma_f32 v46, -0.5, v43, v7
	v_add_f32_e32 v6, v6, v31
	v_add_f32_e32 v9, v9, v34
	;; [unrolled: 1-line block ×4, first 2 shown]
	v_sub_f32_e32 v9, v35, v41
	v_mov_b32_e32 v41, v46
	v_sub_f32_e32 v10, v10, v31
	v_sub_f32_e32 v31, v15, v13
	;; [unrolled: 1-line block ×3, first 2 shown]
	v_fmac_f32_e32 v41, 0xbf737871, v9
	v_fmac_f32_e32 v46, 0x3f737871, v9
	v_add_f32_e32 v31, v31, v35
	v_fmac_f32_e32 v41, 0xbf167918, v10
	v_fmac_f32_e32 v46, 0x3f167918, v10
	;; [unrolled: 1-line block ×4, first 2 shown]
	v_add_f32_e32 v31, v15, v44
	v_fmac_f32_e32 v7, -0.5, v31
	v_fmac_f32_e32 v48, 0x3e9e377a, v47
	v_fmac_f32_e32 v51, 0x3e9e377a, v47
	v_mov_b32_e32 v47, v7
	v_fmac_f32_e32 v47, 0x3f737871, v10
	v_sub_f32_e32 v13, v13, v15
	v_sub_f32_e32 v15, v34, v44
	v_fmac_f32_e32 v7, 0xbf737871, v10
	v_fmac_f32_e32 v47, 0xbf167918, v9
	v_add_f32_e32 v13, v13, v15
	v_fmac_f32_e32 v7, 0x3f167918, v9
	v_add_f32_e32 v10, v32, v42
	v_fmac_f32_e32 v47, 0x3e9e377a, v13
	v_fmac_f32_e32 v7, 0x3e9e377a, v13
	v_fma_f32 v13, -0.5, v10, v14
	v_sub_f32_e32 v10, v11, v1
	v_mov_b32_e32 v15, v13
	v_sub_f32_e32 v31, v45, v32
	v_sub_f32_e32 v34, v8, v42
	v_fmac_f32_e32 v15, 0x3f737871, v10
	v_add_f32_e32 v31, v31, v34
	v_sub_f32_e32 v34, v12, v33
	v_fmac_f32_e32 v13, 0xbf737871, v10
	v_fmac_f32_e32 v15, 0x3f167918, v34
	v_fmac_f32_e32 v13, 0xbf167918, v34
	v_add_f32_e32 v9, v14, v45
	v_fmac_f32_e32 v15, 0x3e9e377a, v31
	v_fmac_f32_e32 v13, 0x3e9e377a, v31
	v_add_f32_e32 v31, v45, v8
	v_fmac_f32_e32 v14, -0.5, v31
	v_sub_f32_e32 v31, v32, v45
	v_sub_f32_e32 v35, v42, v8
	v_add_f32_e32 v9, v9, v32
	v_add_f32_e32 v31, v31, v35
	v_mov_b32_e32 v35, v14
	v_add_f32_e32 v9, v9, v42
	v_fmac_f32_e32 v35, 0xbf737871, v34
	v_fmac_f32_e32 v14, 0x3f737871, v34
	v_add_f32_e32 v34, v9, v8
	v_add_f32_e32 v9, v36, v11
	;; [unrolled: 1-line block ×3, first 2 shown]
	v_fmac_f32_e32 v35, 0x3f167918, v10
	v_fmac_f32_e32 v14, 0xbf167918, v10
	v_add_f32_e32 v9, v9, v33
	v_fmac_f32_e32 v35, 0x3e9e377a, v31
	v_fmac_f32_e32 v14, 0x3e9e377a, v31
	v_add_f32_e32 v31, v9, v1
	v_add_f32_e32 v9, v12, v33
	v_fma_f32 v9, -0.5, v9, v36
	v_sub_f32_e32 v10, v32, v42
	v_sub_f32_e32 v32, v11, v12
	;; [unrolled: 1-line block ×4, first 2 shown]
	v_add_f32_e32 v32, v32, v42
	v_mov_b32_e32 v42, v9
	v_fmac_f32_e32 v42, 0xbf737871, v8
	v_fmac_f32_e32 v9, 0x3f737871, v8
	;; [unrolled: 1-line block ×6, first 2 shown]
	v_add_f32_e32 v32, v11, v1
	v_fmac_f32_e32 v36, -0.5, v32
	v_mov_b32_e32 v32, v36
	v_sub_f32_e32 v11, v12, v11
	v_sub_f32_e32 v1, v33, v1
	v_fmac_f32_e32 v36, 0xbf737871, v10
	v_fmac_f32_e32 v32, 0x3f737871, v10
	v_add_f32_e32 v1, v11, v1
	v_fmac_f32_e32 v36, 0x3f167918, v8
	v_fmac_f32_e32 v32, 0xbf167918, v8
	;; [unrolled: 1-line block ×3, first 2 shown]
	v_mul_f32_e32 v11, 0x3e9e377a, v14
	v_fmac_f32_e32 v32, 0x3e9e377a, v1
	v_fma_f32 v52, v36, s2, -v11
	v_mul_f32_e32 v53, 0xbf737871, v35
	v_mul_f32_e32 v11, 0x3f4f1bbd, v13
	;; [unrolled: 1-line block ×3, first 2 shown]
	v_fmac_f32_e32 v53, 0x3e9e377a, v32
	v_fma_f32 v32, v9, s3, -v11
	v_mul_f32_e32 v11, 0x3e9e377a, v36
	v_add_f32_e32 v8, v6, v34
	v_fma_f32 v54, v14, s4, -v11
	v_sub_f32_e32 v14, v6, v34
	v_lshrrev_b32_e32 v6, 3, v16
	v_mul_u32_u24_e32 v6, 0x50, v6
	v_mul_f32_e32 v1, 0x3f167918, v42
	v_mul_f32_e32 v45, 0xbf167918, v15
	v_or_b32_e32 v6, v6, v49
	v_fmac_f32_e32 v1, 0x3f4f1bbd, v15
	v_fmac_f32_e32 v45, 0x3f4f1bbd, v42
	v_mul_f32_e32 v9, 0x3f4f1bbd, v9
	v_lshlrev_b32_e32 v6, 3, v6
	v_add_f32_e32 v10, v50, v1
	v_fmac_f32_e32 v44, 0x3e9e377a, v35
	v_fma_f32 v55, v13, s5, -v9
	v_add_f32_e32 v9, v43, v31
	v_add_f32_e32 v11, v41, v45
	v_add3_u32 v4, 0, v6, v4
	v_add_f32_e32 v12, v51, v44
	v_sub_f32_e32 v15, v43, v31
	v_add_f32_e32 v33, v48, v52
	v_sub_f32_e32 v35, v50, v1
	v_sub_f32_e32 v36, v41, v45
	v_add_f32_e32 v41, v0, v32
	v_add_f32_e32 v13, v47, v53
	;; [unrolled: 1-line block ×4, first 2 shown]
	v_sub_f32_e32 v43, v51, v44
	v_sub_f32_e32 v31, v48, v52
	;; [unrolled: 1-line block ×6, first 2 shown]
	s_barrier
	ds_write2_b64 v4, v[8:9], v[10:11] offset1:8
	ds_write2_b64 v4, v[12:13], v[33:34] offset0:16 offset1:24
	ds_write2_b64 v4, v[41:42], v[14:15] offset0:32 offset1:40
	;; [unrolled: 1-line block ×4, first 2 shown]
	v_add_u32_e32 v4, 0x400, v17
	s_waitcnt lgkmcnt(0)
	s_barrier
	ds_read2_b64 v[8:11], v17 offset0:80 offset1:160
	ds_read2_b64 v[12:15], v4 offset0:112 offset1:192
	;; [unrolled: 1-line block ×3, first 2 shown]
	ds_read_b64 v[33:34], v38
	ds_read_b64 v[35:36], v17 offset:4480
	s_movk_i32 s4, 0x50
	s_and_saveexec_b64 s[2:3], s[0:1]
	s_cbranch_execz .LBB0_17
; %bb.16:
	v_add_u32_e32 v21, 0x800, v17
	ds_read2_b64 v[0:3], v17 offset0:144 offset1:224
	ds_read2_b64 v[25:28], v21 offset0:48 offset1:128
	v_add_u32_e32 v21, 0xc00, v17
	ds_read2_b64 v[41:44], v21 offset0:80 offset1:160
	ds_read_b64 v[31:32], v40
	ds_read_b64 v[23:24], v17 offset:4992
	s_waitcnt lgkmcnt(4)
	v_mov_b32_e32 v22, v3
	v_mov_b32_e32 v21, v2
	s_waitcnt lgkmcnt(3)
	v_mov_b32_e32 v30, v26
	v_mov_b32_e32 v29, v25
	;; [unrolled: 1-line block ×4, first 2 shown]
	s_waitcnt lgkmcnt(2)
	v_mov_b32_e32 v26, v42
	v_mov_b32_e32 v25, v41
	;; [unrolled: 1-line block ×4, first 2 shown]
.LBB0_17:
	s_or_b64 exec, exec, s[2:3]
	v_mul_u32_u24_e32 v41, 7, v16
	v_lshlrev_b32_e32 v55, 3, v41
	global_load_dwordx4 v[41:44], v55, s[8:9] offset:576
	global_load_dwordx4 v[45:48], v55, s[8:9] offset:592
	;; [unrolled: 1-line block ×3, first 2 shown]
	global_load_dwordx2 v[53:54], v55, s[8:9] offset:624
	v_cmp_gt_u32_e64 s[2:3], s4, v20
	s_waitcnt vmcnt(0) lgkmcnt(0)
	s_barrier
	v_mul_f32_e32 v55, v42, v9
	v_mul_f32_e32 v42, v42, v8
	;; [unrolled: 1-line block ×14, first 2 shown]
	v_fma_f32 v8, v41, v8, -v55
	v_fmac_f32_e32 v42, v41, v9
	v_fma_f32 v9, v43, v10, -v56
	v_fmac_f32_e32 v44, v43, v11
	v_fma_f32 v10, v45, v12, -v57
	v_fma_f32 v11, v47, v14, -v58
	v_fmac_f32_e32 v48, v47, v15
	v_fma_f32 v4, v49, v4, -v59
	v_fmac_f32_e32 v50, v49, v5
	;; [unrolled: 2-line block ×4, first 2 shown]
	v_fmac_f32_e32 v54, v53, v36
	v_sub_f32_e32 v7, v33, v11
	v_sub_f32_e32 v11, v34, v48
	;; [unrolled: 1-line block ×8, first 2 shown]
	v_fma_f32 v8, v8, 2.0, -v4
	v_fma_f32 v35, v42, 2.0, -v13
	;; [unrolled: 1-line block ×3, first 2 shown]
	v_sub_f32_e32 v41, v7, v12
	v_add_f32_e32 v42, v11, v5
	v_fma_f32 v15, v33, 2.0, -v7
	v_fma_f32 v33, v34, 2.0, -v11
	;; [unrolled: 1-line block ×5, first 2 shown]
	v_sub_f32_e32 v14, v4, v14
	v_add_f32_e32 v43, v13, v6
	v_fma_f32 v44, v7, 2.0, -v41
	v_fma_f32 v45, v11, 2.0, -v42
	v_sub_f32_e32 v11, v8, v10
	v_sub_f32_e32 v5, v15, v9
	;; [unrolled: 1-line block ×4, first 2 shown]
	v_fma_f32 v36, v4, 2.0, -v14
	v_fma_f32 v46, v13, 2.0, -v43
	;; [unrolled: 1-line block ×3, first 2 shown]
	v_mov_b32_e32 v8, v44
	v_mov_b32_e32 v9, v45
	;; [unrolled: 1-line block ×4, first 2 shown]
	v_fma_f32 v15, v15, 2.0, -v5
	v_fma_f32 v33, v33, 2.0, -v34
	;; [unrolled: 1-line block ×3, first 2 shown]
	v_fmac_f32_e32 v8, 0xbf3504f3, v36
	v_fmac_f32_e32 v9, 0xbf3504f3, v46
	v_sub_f32_e32 v10, v5, v10
	v_add_f32_e32 v11, v34, v11
	v_fmac_f32_e32 v6, 0x3f3504f3, v14
	v_fmac_f32_e32 v7, 0x3f3504f3, v43
	v_sub_f32_e32 v12, v15, v4
	v_sub_f32_e32 v13, v33, v13
	v_fmac_f32_e32 v8, 0xbf3504f3, v46
	v_fmac_f32_e32 v9, 0x3f3504f3, v36
	v_fma_f32 v4, v5, 2.0, -v10
	v_fma_f32 v5, v34, 2.0, -v11
	v_fmac_f32_e32 v6, 0xbf3504f3, v43
	v_fmac_f32_e32 v7, 0x3f3504f3, v14
	v_fma_f32 v14, v15, 2.0, -v12
	v_fma_f32 v15, v33, 2.0, -v13
	;; [unrolled: 1-line block ×6, first 2 shown]
	ds_write2_b64 v17, v[14:15], v[35:36] offset1:80
	ds_write2_b64 v17, v[4:5], v[33:34] offset0:160 offset1:240
	v_add_u32_e32 v4, 0x800, v17
	v_add_u32_e32 v5, 0xc00, v17
	ds_write2_b64 v4, v[12:13], v[8:9] offset0:64 offset1:144
	ds_write2_b64 v5, v[10:11], v[6:7] offset0:96 offset1:176
	s_and_saveexec_b64 s[4:5], s[0:1]
	s_cbranch_execz .LBB0_19
; %bb.18:
	v_add_u32_e32 v6, -16, v16
	v_cndmask_b32_e64 v6, v6, v20, s[2:3]
	v_mul_i32_i24_e32 v6, 7, v6
	v_mov_b32_e32 v7, 0
	v_lshlrev_b64 v[6:7], 3, v[6:7]
	v_mov_b32_e32 v8, s9
	v_add_co_u32_e64 v14, s[0:1], s8, v6
	v_addc_co_u32_e64 v15, s[0:1], v8, v7, s[0:1]
	global_load_dwordx4 v[6:9], v[14:15], off offset:576
	global_load_dwordx4 v[10:13], v[14:15], off offset:608
	;; [unrolled: 1-line block ×3, first 2 shown]
	global_load_dwordx2 v[41:42], v[14:15], off offset:624
	s_waitcnt vmcnt(3)
	v_mul_f32_e32 v14, v22, v9
	s_waitcnt vmcnt(2)
	v_mul_f32_e32 v15, v28, v13
	;; [unrolled: 2-line block ×3, first 2 shown]
	v_mul_f32_e32 v44, v1, v7
	v_mul_f32_e32 v45, v26, v11
	;; [unrolled: 1-line block ×3, first 2 shown]
	s_waitcnt vmcnt(0)
	v_mul_f32_e32 v47, v23, v42
	v_mul_f32_e32 v34, v30, v34
	;; [unrolled: 1-line block ×8, first 2 shown]
	v_fma_f32 v14, v21, v8, -v14
	v_fma_f32 v15, v27, v12, -v15
	v_fmac_f32_e32 v43, v3, v35
	v_fma_f32 v0, v0, v6, -v44
	v_fma_f32 v3, v25, v10, -v45
	v_fmac_f32_e32 v46, v30, v33
	v_fmac_f32_e32 v47, v24, v41
	v_fma_f32 v21, v29, v33, -v34
	v_fma_f32 v23, v23, v41, -v42
	v_fmac_f32_e32 v7, v1, v6
	v_fmac_f32_e32 v11, v26, v10
	v_fma_f32 v1, v2, v35, -v36
	v_fmac_f32_e32 v9, v22, v8
	v_fmac_f32_e32 v13, v28, v12
	v_sub_f32_e32 v2, v14, v15
	v_sub_f32_e32 v6, v32, v43
	;; [unrolled: 1-line block ×8, first 2 shown]
	v_add_f32_e32 v13, v6, v2
	v_add_f32_e32 v22, v11, v10
	v_sub_f32_e32 v23, v12, v1
	v_fma_f32 v24, v32, 2.0, -v6
	v_fma_f32 v9, v9, 2.0, -v1
	;; [unrolled: 1-line block ×8, first 2 shown]
	v_sub_f32_e32 v15, v3, v8
	v_sub_f32_e32 v8, v24, v9
	;; [unrolled: 1-line block ×5, first 2 shown]
	v_fma_f32 v27, v6, 2.0, -v13
	v_fma_f32 v30, v12, 2.0, -v23
	v_mov_b32_e32 v1, v13
	v_mov_b32_e32 v0, v23
	v_fma_f32 v28, v3, 2.0, -v15
	v_fma_f32 v29, v11, 2.0, -v22
	v_add_f32_e32 v3, v8, v10
	v_mov_b32_e32 v7, v27
	v_mov_b32_e32 v6, v30
	v_fma_f32 v24, v24, 2.0, -v8
	v_fma_f32 v11, v14, 2.0, -v9
	;; [unrolled: 1-line block ×4, first 2 shown]
	v_fmac_f32_e32 v1, 0x3f3504f3, v22
	v_fmac_f32_e32 v0, 0x3f3504f3, v15
	;; [unrolled: 1-line block ×4, first 2 shown]
	v_sub_f32_e32 v11, v24, v11
	v_sub_f32_e32 v10, v14, v10
	;; [unrolled: 1-line block ×3, first 2 shown]
	v_fmac_f32_e32 v1, 0x3f3504f3, v15
	v_fmac_f32_e32 v0, 0xbf3504f3, v22
	v_fmac_f32_e32 v7, 0x3f3504f3, v28
	v_fmac_f32_e32 v6, 0xbf3504f3, v29
	v_fma_f32 v15, v24, 2.0, -v11
	v_fma_f32 v14, v14, 2.0, -v10
	;; [unrolled: 1-line block ×8, first 2 shown]
	ds_write_b64 v40, v[14:15]
	ds_write2_b64 v17, v[21:22], v[8:9] offset0:144 offset1:224
	ds_write2_b64 v4, v[12:13], v[10:11] offset0:48 offset1:128
	;; [unrolled: 1-line block ×3, first 2 shown]
	ds_write_b64 v17, v[0:1] offset:4992
.LBB0_19:
	s_or_b64 exec, exec, s[4:5]
	s_waitcnt lgkmcnt(0)
	s_barrier
	ds_read_b64 v[4:5], v38
	s_add_u32 s2, s8, 0x13c0
	s_addc_u32 s3, s9, 0
	v_sub_u32_e32 v6, v39, v37
	v_cmp_ne_u32_e64 s[0:1], 0, v16
                                        ; implicit-def: $vgpr2
                                        ; implicit-def: $vgpr7
                                        ; implicit-def: $vgpr8
                                        ; implicit-def: $vgpr0_vgpr1
	s_and_saveexec_b64 s[4:5], s[0:1]
	s_xor_b64 s[0:1], exec, s[4:5]
	s_cbranch_execz .LBB0_21
; %bb.20:
	global_load_dwordx2 v[0:1], v37, s[2:3]
	ds_read_b64 v[2:3], v6 offset:5120
	v_mov_b32_e32 v17, 0
	s_waitcnt lgkmcnt(0)
	v_add_f32_e32 v9, v2, v4
	v_sub_f32_e32 v2, v4, v2
	v_add_f32_e32 v7, v3, v5
	v_sub_f32_e32 v3, v5, v3
	v_mul_f32_e32 v2, 0.5, v2
	v_mul_f32_e32 v4, 0.5, v7
	;; [unrolled: 1-line block ×3, first 2 shown]
	s_waitcnt vmcnt(0)
	v_mul_f32_e32 v5, v1, v2
	v_fma_f32 v8, v4, v1, v3
	v_fma_f32 v1, v4, v1, -v3
	v_fma_f32 v7, 0.5, v9, v5
	v_fma_f32 v5, v9, 0.5, -v5
	v_fma_f32 v8, -v0, v2, v8
	v_fma_f32 v3, -v0, v2, v1
	v_fmac_f32_e32 v7, v0, v4
	v_fma_f32 v2, -v0, v4, v5
	v_mov_b32_e32 v0, v16
	v_mov_b32_e32 v1, v17
                                        ; implicit-def: $vgpr4_vgpr5
.LBB0_21:
	s_andn2_saveexec_b64 s[0:1], s[0:1]
	s_cbranch_execz .LBB0_23
; %bb.22:
	ds_read_b32 v3, v39 offset:2564
	v_mov_b32_e32 v0, 0
	s_waitcnt lgkmcnt(1)
	v_add_f32_e32 v7, v4, v5
	v_sub_f32_e32 v2, v4, v5
	v_mov_b32_e32 v1, 0
	s_waitcnt lgkmcnt(0)
	v_xor_b32_e32 v3, 0x80000000, v3
	v_mov_b32_e32 v8, 0
	ds_write_b32 v39, v3 offset:2564
	v_mov_b32_e32 v3, 0
.LBB0_23:
	s_or_b64 exec, exec, s[0:1]
	v_mov_b32_e32 v21, 0
	s_waitcnt lgkmcnt(0)
	v_lshlrev_b64 v[4:5], 3, v[20:21]
	v_mov_b32_e32 v9, s3
	v_add_co_u32_e64 v4, s[0:1], s2, v4
	v_addc_co_u32_e64 v5, s[0:1], v9, v5, s[0:1]
	global_load_dwordx2 v[4:5], v[4:5], off
	v_lshlrev_b64 v[0:1], 3, v[0:1]
	v_mov_b32_e32 v10, s3
	v_add_co_u32_e64 v9, s[0:1], s2, v0
	v_addc_co_u32_e64 v10, s[0:1], v10, v1, s[0:1]
	global_load_dwordx2 v[11:12], v[9:10], off offset:1024
	global_load_dwordx2 v[13:14], v[9:10], off offset:1536
	ds_write2_b32 v38, v7, v8 offset1:1
	ds_write_b64 v6, v[2:3] offset:5120
	v_lshl_add_u32 v15, v20, 3, v39
	ds_read_b64 v[2:3], v15
	ds_read_b64 v[7:8], v6 offset:4608
	global_load_dwordx2 v[9:10], v[9:10], off offset:2048
	s_waitcnt lgkmcnt(0)
	v_add_f32_e32 v17, v2, v7
	v_sub_f32_e32 v2, v2, v7
	v_add_f32_e32 v20, v3, v8
	v_sub_f32_e32 v3, v3, v8
	v_mul_f32_e32 v2, 0.5, v2
	v_mul_f32_e32 v7, 0.5, v20
	;; [unrolled: 1-line block ×3, first 2 shown]
	s_waitcnt vmcnt(3)
	v_mul_f32_e32 v8, v5, v2
	v_fma_f32 v20, v7, v5, v3
	v_fma_f32 v3, v7, v5, -v3
	v_fma_f32 v5, 0.5, v17, v8
	v_fma_f32 v20, -v4, v2, v20
	v_fma_f32 v8, v17, 0.5, -v8
	v_fmac_f32_e32 v5, v4, v7
	v_fma_f32 v3, -v4, v2, v3
	v_fma_f32 v2, -v4, v7, v8
	ds_write2_b32 v15, v5, v20 offset1:1
	ds_write_b64 v6, v[2:3] offset:4608
	ds_read_b64 v[2:3], v38 offset:1024
	ds_read_b64 v[4:5], v6 offset:4096
	v_add_u32_e32 v7, 0x400, v38
	s_waitcnt lgkmcnt(0)
	v_add_f32_e32 v8, v2, v4
	v_sub_f32_e32 v2, v2, v4
	v_add_f32_e32 v15, v3, v5
	v_sub_f32_e32 v3, v3, v5
	v_mul_f32_e32 v2, 0.5, v2
	v_mul_f32_e32 v4, 0.5, v15
	;; [unrolled: 1-line block ×3, first 2 shown]
	s_waitcnt vmcnt(2)
	v_mul_f32_e32 v5, v12, v2
	v_fma_f32 v15, v4, v12, v3
	v_fma_f32 v3, v4, v12, -v3
	v_fma_f32 v12, 0.5, v8, v5
	v_fma_f32 v15, -v11, v2, v15
	v_fma_f32 v5, v8, 0.5, -v5
	v_fmac_f32_e32 v12, v11, v4
	v_fma_f32 v3, -v11, v2, v3
	v_fma_f32 v2, -v11, v4, v5
	ds_write2_b32 v7, v12, v15 offset1:1
	ds_write_b64 v6, v[2:3] offset:4096
	ds_read_b64 v[2:3], v38 offset:1536
	ds_read_b64 v[4:5], v6 offset:3584
	s_waitcnt lgkmcnt(0)
	v_add_f32_e32 v8, v2, v4
	v_sub_f32_e32 v2, v2, v4
	v_add_f32_e32 v11, v3, v5
	v_sub_f32_e32 v3, v3, v5
	v_mul_f32_e32 v2, 0.5, v2
	v_mul_f32_e32 v4, 0.5, v11
	;; [unrolled: 1-line block ×3, first 2 shown]
	s_waitcnt vmcnt(1)
	v_mul_f32_e32 v5, v14, v2
	v_fma_f32 v11, v4, v14, v3
	v_fma_f32 v12, 0.5, v8, v5
	v_fma_f32 v3, v4, v14, -v3
	v_fma_f32 v11, -v13, v2, v11
	v_fma_f32 v5, v8, 0.5, -v5
	v_fmac_f32_e32 v12, v13, v4
	v_fma_f32 v3, -v13, v2, v3
	v_fma_f32 v2, -v13, v4, v5
	ds_write2_b32 v7, v12, v11 offset0:128 offset1:129
	ds_write_b64 v6, v[2:3] offset:3584
	ds_read_b64 v[2:3], v38 offset:2048
	ds_read_b64 v[4:5], v6 offset:3072
	v_add_u32_e32 v7, 0x800, v38
	s_waitcnt lgkmcnt(0)
	v_add_f32_e32 v8, v2, v4
	v_sub_f32_e32 v2, v2, v4
	v_add_f32_e32 v11, v3, v5
	v_sub_f32_e32 v3, v3, v5
	v_mul_f32_e32 v2, 0.5, v2
	v_mul_f32_e32 v4, 0.5, v11
	;; [unrolled: 1-line block ×3, first 2 shown]
	s_waitcnt vmcnt(0)
	v_mul_f32_e32 v5, v10, v2
	v_fma_f32 v11, v4, v10, v3
	v_fma_f32 v3, v4, v10, -v3
	v_fma_f32 v10, 0.5, v8, v5
	v_fma_f32 v11, -v9, v2, v11
	v_fma_f32 v5, v8, 0.5, -v5
	v_fmac_f32_e32 v10, v9, v4
	v_fma_f32 v3, -v9, v2, v3
	v_fma_f32 v2, -v9, v4, v5
	ds_write2_b32 v7, v10, v11 offset1:1
	ds_write_b64 v6, v[2:3] offset:3072
	s_waitcnt lgkmcnt(0)
	s_barrier
	s_and_saveexec_b64 s[0:1], vcc
	s_cbranch_execz .LBB0_26
; %bb.24:
	ds_read2st64_b64 v[4:7], v38 offset1:1
	ds_read2st64_b64 v[8:11], v38 offset0:2 offset1:3
	v_mov_b32_e32 v2, s13
	v_add_co_u32_e32 v3, vcc, s12, v18
	v_addc_co_u32_e32 v2, vcc, v2, v19, vcc
	v_add_co_u32_e32 v0, vcc, v3, v0
	ds_read2st64_b64 v[12:15], v38 offset0:4 offset1:5
	v_addc_co_u32_e32 v1, vcc, v2, v1, vcc
	s_waitcnt lgkmcnt(2)
	global_store_dwordx2 v[0:1], v[4:5], off
	global_store_dwordx2 v[0:1], v[6:7], off offset:512
	ds_read2st64_b64 v[4:7], v38 offset0:6 offset1:7
	s_waitcnt lgkmcnt(2)
	global_store_dwordx2 v[0:1], v[8:9], off offset:1024
	global_store_dwordx2 v[0:1], v[10:11], off offset:1536
	s_waitcnt lgkmcnt(1)
	global_store_dwordx2 v[0:1], v[12:13], off offset:2048
	global_store_dwordx2 v[0:1], v[14:15], off offset:2560
	;; [unrolled: 3-line block ×3, first 2 shown]
	ds_read2st64_b64 v[4:7], v38 offset0:8 offset1:9
	v_or_b32_e32 v0, 0x1000, v37
	v_add_co_u32_e32 v0, vcc, v3, v0
	v_addc_co_u32_e32 v1, vcc, 0, v2, vcc
	s_waitcnt lgkmcnt(0)
	global_store_dwordx2 v[0:1], v[4:5], off
	v_or_b32_e32 v0, 0x1200, v37
	v_add_co_u32_e32 v0, vcc, v3, v0
	v_addc_co_u32_e32 v1, vcc, 0, v2, vcc
	v_cmp_eq_u32_e32 vcc, 63, v16
	global_store_dwordx2 v[0:1], v[6:7], off
	s_and_b64 exec, exec, vcc
	s_cbranch_execz .LBB0_26
; %bb.25:
	ds_read_b64 v[0:1], v38 offset:4616
	v_add_co_u32_e32 v3, vcc, 0x1000, v3
	v_addc_co_u32_e32 v4, vcc, 0, v2, vcc
	s_waitcnt lgkmcnt(0)
	global_store_dwordx2 v[3:4], v[0:1], off offset:1024
.LBB0_26:
	s_endpgm
	.section	.rodata,"a",@progbits
	.p2align	6, 0x0
	.amdhsa_kernel fft_rtc_fwd_len640_factors_8_10_8_wgs_128_tpt_64_halfLds_sp_ip_CI_unitstride_sbrr_R2C_dirReg
		.amdhsa_group_segment_fixed_size 0
		.amdhsa_private_segment_fixed_size 0
		.amdhsa_kernarg_size 88
		.amdhsa_user_sgpr_count 6
		.amdhsa_user_sgpr_private_segment_buffer 1
		.amdhsa_user_sgpr_dispatch_ptr 0
		.amdhsa_user_sgpr_queue_ptr 0
		.amdhsa_user_sgpr_kernarg_segment_ptr 1
		.amdhsa_user_sgpr_dispatch_id 0
		.amdhsa_user_sgpr_flat_scratch_init 0
		.amdhsa_user_sgpr_private_segment_size 0
		.amdhsa_uses_dynamic_stack 0
		.amdhsa_system_sgpr_private_segment_wavefront_offset 0
		.amdhsa_system_sgpr_workgroup_id_x 1
		.amdhsa_system_sgpr_workgroup_id_y 0
		.amdhsa_system_sgpr_workgroup_id_z 0
		.amdhsa_system_sgpr_workgroup_info 0
		.amdhsa_system_vgpr_workitem_id 0
		.amdhsa_next_free_vgpr 62
		.amdhsa_next_free_sgpr 22
		.amdhsa_reserve_vcc 1
		.amdhsa_reserve_flat_scratch 0
		.amdhsa_float_round_mode_32 0
		.amdhsa_float_round_mode_16_64 0
		.amdhsa_float_denorm_mode_32 3
		.amdhsa_float_denorm_mode_16_64 3
		.amdhsa_dx10_clamp 1
		.amdhsa_ieee_mode 1
		.amdhsa_fp16_overflow 0
		.amdhsa_exception_fp_ieee_invalid_op 0
		.amdhsa_exception_fp_denorm_src 0
		.amdhsa_exception_fp_ieee_div_zero 0
		.amdhsa_exception_fp_ieee_overflow 0
		.amdhsa_exception_fp_ieee_underflow 0
		.amdhsa_exception_fp_ieee_inexact 0
		.amdhsa_exception_int_div_zero 0
	.end_amdhsa_kernel
	.text
.Lfunc_end0:
	.size	fft_rtc_fwd_len640_factors_8_10_8_wgs_128_tpt_64_halfLds_sp_ip_CI_unitstride_sbrr_R2C_dirReg, .Lfunc_end0-fft_rtc_fwd_len640_factors_8_10_8_wgs_128_tpt_64_halfLds_sp_ip_CI_unitstride_sbrr_R2C_dirReg
                                        ; -- End function
	.section	.AMDGPU.csdata,"",@progbits
; Kernel info:
; codeLenInByte = 6264
; NumSgprs: 26
; NumVgprs: 62
; ScratchSize: 0
; MemoryBound: 0
; FloatMode: 240
; IeeeMode: 1
; LDSByteSize: 0 bytes/workgroup (compile time only)
; SGPRBlocks: 3
; VGPRBlocks: 15
; NumSGPRsForWavesPerEU: 26
; NumVGPRsForWavesPerEU: 62
; Occupancy: 4
; WaveLimiterHint : 1
; COMPUTE_PGM_RSRC2:SCRATCH_EN: 0
; COMPUTE_PGM_RSRC2:USER_SGPR: 6
; COMPUTE_PGM_RSRC2:TRAP_HANDLER: 0
; COMPUTE_PGM_RSRC2:TGID_X_EN: 1
; COMPUTE_PGM_RSRC2:TGID_Y_EN: 0
; COMPUTE_PGM_RSRC2:TGID_Z_EN: 0
; COMPUTE_PGM_RSRC2:TIDIG_COMP_CNT: 0
	.type	__hip_cuid_eb5529cab9ba21ba,@object ; @__hip_cuid_eb5529cab9ba21ba
	.section	.bss,"aw",@nobits
	.globl	__hip_cuid_eb5529cab9ba21ba
__hip_cuid_eb5529cab9ba21ba:
	.byte	0                               ; 0x0
	.size	__hip_cuid_eb5529cab9ba21ba, 1

	.ident	"AMD clang version 19.0.0git (https://github.com/RadeonOpenCompute/llvm-project roc-6.4.0 25133 c7fe45cf4b819c5991fe208aaa96edf142730f1d)"
	.section	".note.GNU-stack","",@progbits
	.addrsig
	.addrsig_sym __hip_cuid_eb5529cab9ba21ba
	.amdgpu_metadata
---
amdhsa.kernels:
  - .args:
      - .actual_access:  read_only
        .address_space:  global
        .offset:         0
        .size:           8
        .value_kind:     global_buffer
      - .offset:         8
        .size:           8
        .value_kind:     by_value
      - .actual_access:  read_only
        .address_space:  global
        .offset:         16
        .size:           8
        .value_kind:     global_buffer
      - .actual_access:  read_only
        .address_space:  global
        .offset:         24
        .size:           8
        .value_kind:     global_buffer
      - .offset:         32
        .size:           8
        .value_kind:     by_value
      - .actual_access:  read_only
        .address_space:  global
        .offset:         40
        .size:           8
        .value_kind:     global_buffer
      - .actual_access:  read_only
        .address_space:  global
        .offset:         48
        .size:           8
        .value_kind:     global_buffer
      - .offset:         56
        .size:           4
        .value_kind:     by_value
      - .actual_access:  read_only
        .address_space:  global
        .offset:         64
        .size:           8
        .value_kind:     global_buffer
      - .actual_access:  read_only
        .address_space:  global
        .offset:         72
        .size:           8
        .value_kind:     global_buffer
      - .address_space:  global
        .offset:         80
        .size:           8
        .value_kind:     global_buffer
    .group_segment_fixed_size: 0
    .kernarg_segment_align: 8
    .kernarg_segment_size: 88
    .language:       OpenCL C
    .language_version:
      - 2
      - 0
    .max_flat_workgroup_size: 128
    .name:           fft_rtc_fwd_len640_factors_8_10_8_wgs_128_tpt_64_halfLds_sp_ip_CI_unitstride_sbrr_R2C_dirReg
    .private_segment_fixed_size: 0
    .sgpr_count:     26
    .sgpr_spill_count: 0
    .symbol:         fft_rtc_fwd_len640_factors_8_10_8_wgs_128_tpt_64_halfLds_sp_ip_CI_unitstride_sbrr_R2C_dirReg.kd
    .uniform_work_group_size: 1
    .uses_dynamic_stack: false
    .vgpr_count:     62
    .vgpr_spill_count: 0
    .wavefront_size: 64
amdhsa.target:   amdgcn-amd-amdhsa--gfx906
amdhsa.version:
  - 1
  - 2
...

	.end_amdgpu_metadata
